;; amdgpu-corpus repo=ROCm/hip-tests kind=compiled arch=gfx906 opt=O3
	.amdgcn_target "amdgcn-amd-amdhsa--gfx906"
	.amdhsa_code_object_version 6
	.section	.text._Z15sampleRateFloatIfEvPT_jjPS1_i,"axG",@progbits,_Z15sampleRateFloatIfEvPT_jjPS1_i,comdat
	.protected	_Z15sampleRateFloatIfEvPT_jjPS1_i ; -- Begin function _Z15sampleRateFloatIfEvPT_jjPS1_i
	.globl	_Z15sampleRateFloatIfEvPT_jjPS1_i
	.p2align	8
	.type	_Z15sampleRateFloatIfEvPT_jjPS1_i,@function
_Z15sampleRateFloatIfEvPT_jjPS1_i:      ; @_Z15sampleRateFloatIfEvPT_jjPS1_i
; %bb.0:
	s_load_dword s3, s[4:5], 0x2c
	s_load_dword s2, s[4:5], 0x18
	s_load_dwordx2 s[0:1], s[4:5], 0x8
	s_waitcnt lgkmcnt(0)
	s_and_b32 s3, s3, 0xffff
	s_mul_i32 s6, s6, s3
	s_cmp_lt_i32 s2, 1
	v_add_u32_e32 v0, s6, v0
	s_cbranch_scc1 .LBB0_3
; %bb.1:
	v_cvt_f32_u32_e32 v1, s0
	s_sub_i32 s3, 0, s0
	s_load_dwordx2 s[6:7], s[4:5], 0x10
	v_rcp_iflag_f32_e32 v1, v1
	s_waitcnt lgkmcnt(0)
	s_load_dwordx2 s[6:7], s[6:7], 0x0
	v_mul_f32_e32 v1, 0x4f7ffffe, v1
	v_cvt_u32_f32_e32 v1, v1
	s_waitcnt lgkmcnt(0)
	v_mov_b32_e32 v5, s7
	v_mul_lo_u32 v2, s3, v1
	v_mul_hi_u32 v2, v1, v2
	v_add_u32_e32 v1, v1, v2
	v_mul_hi_u32 v1, v0, v1
	v_mov_b32_e32 v2, 0
	v_mul_lo_u32 v1, v1, s0
	v_sub_u32_e32 v1, v0, v1
	v_subrev_u32_e32 v3, s0, v1
	v_cmp_le_u32_e32 vcc, s0, v1
	v_cndmask_b32_e32 v1, v1, v3, vcc
	v_subrev_u32_e32 v3, s0, v1
	v_cmp_le_u32_e32 vcc, s0, v1
	v_cndmask_b32_e32 v1, v1, v3, vcc
	v_lshlrev_b64 v[3:4], 2, v[1:2]
	v_add_co_u32_e32 v3, vcc, s6, v3
	v_addc_co_u32_e32 v4, vcc, v5, v4, vcc
.LBB0_2:                                ; =>This Inner Loop Header: Depth=1
	flat_load_dword v1, v[3:4]
	s_add_i32 s2, s2, -1
	v_add_co_u32_e32 v3, vcc, 4, v3
	v_addc_co_u32_e32 v4, vcc, 0, v4, vcc
	s_cmp_eq_u32 s2, 0
	s_waitcnt vmcnt(0) lgkmcnt(0)
	v_add_f32_e32 v2, v2, v1
	s_cbranch_scc0 .LBB0_2
	s_branch .LBB0_4
.LBB0_3:
	v_mov_b32_e32 v2, 0
.LBB0_4:
	v_cvt_u32_f32_e32 v1, v2
	v_mul_lo_u32 v1, s1, v1
	v_cmp_ne_u32_e32 vcc, 0, v1
	s_and_saveexec_b64 s[0:1], vcc
	s_cbranch_execz .LBB0_6
; %bb.5:
	s_load_dwordx2 s[0:1], s[4:5], 0x0
	v_mov_b32_e32 v1, 0
	v_lshlrev_b64 v[0:1], 2, v[0:1]
	s_waitcnt lgkmcnt(0)
	v_mov_b32_e32 v3, s1
	v_add_co_u32_e32 v0, vcc, s0, v0
	v_addc_co_u32_e32 v1, vcc, v3, v1, vcc
	global_store_dword v[0:1], v2, off
.LBB0_6:
	s_endpgm
	.section	.rodata,"a",@progbits
	.p2align	6, 0x0
	.amdhsa_kernel _Z15sampleRateFloatIfEvPT_jjPS1_i
		.amdhsa_group_segment_fixed_size 0
		.amdhsa_private_segment_fixed_size 0
		.amdhsa_kernarg_size 288
		.amdhsa_user_sgpr_count 6
		.amdhsa_user_sgpr_private_segment_buffer 1
		.amdhsa_user_sgpr_dispatch_ptr 0
		.amdhsa_user_sgpr_queue_ptr 0
		.amdhsa_user_sgpr_kernarg_segment_ptr 1
		.amdhsa_user_sgpr_dispatch_id 0
		.amdhsa_user_sgpr_flat_scratch_init 0
		.amdhsa_user_sgpr_private_segment_size 0
		.amdhsa_uses_dynamic_stack 0
		.amdhsa_system_sgpr_private_segment_wavefront_offset 0
		.amdhsa_system_sgpr_workgroup_id_x 1
		.amdhsa_system_sgpr_workgroup_id_y 0
		.amdhsa_system_sgpr_workgroup_id_z 0
		.amdhsa_system_sgpr_workgroup_info 0
		.amdhsa_system_vgpr_workitem_id 0
		.amdhsa_next_free_vgpr 6
		.amdhsa_next_free_sgpr 8
		.amdhsa_reserve_vcc 1
		.amdhsa_reserve_flat_scratch 0
		.amdhsa_float_round_mode_32 0
		.amdhsa_float_round_mode_16_64 0
		.amdhsa_float_denorm_mode_32 3
		.amdhsa_float_denorm_mode_16_64 3
		.amdhsa_dx10_clamp 1
		.amdhsa_ieee_mode 1
		.amdhsa_fp16_overflow 0
		.amdhsa_exception_fp_ieee_invalid_op 0
		.amdhsa_exception_fp_denorm_src 0
		.amdhsa_exception_fp_ieee_div_zero 0
		.amdhsa_exception_fp_ieee_overflow 0
		.amdhsa_exception_fp_ieee_underflow 0
		.amdhsa_exception_fp_ieee_inexact 0
		.amdhsa_exception_int_div_zero 0
	.end_amdhsa_kernel
	.section	.text._Z15sampleRateFloatIfEvPT_jjPS1_i,"axG",@progbits,_Z15sampleRateFloatIfEvPT_jjPS1_i,comdat
.Lfunc_end0:
	.size	_Z15sampleRateFloatIfEvPT_jjPS1_i, .Lfunc_end0-_Z15sampleRateFloatIfEvPT_jjPS1_i
                                        ; -- End function
	.set _Z15sampleRateFloatIfEvPT_jjPS1_i.num_vgpr, 6
	.set _Z15sampleRateFloatIfEvPT_jjPS1_i.num_agpr, 0
	.set _Z15sampleRateFloatIfEvPT_jjPS1_i.numbered_sgpr, 8
	.set _Z15sampleRateFloatIfEvPT_jjPS1_i.num_named_barrier, 0
	.set _Z15sampleRateFloatIfEvPT_jjPS1_i.private_seg_size, 0
	.set _Z15sampleRateFloatIfEvPT_jjPS1_i.uses_vcc, 1
	.set _Z15sampleRateFloatIfEvPT_jjPS1_i.uses_flat_scratch, 0
	.set _Z15sampleRateFloatIfEvPT_jjPS1_i.has_dyn_sized_stack, 0
	.set _Z15sampleRateFloatIfEvPT_jjPS1_i.has_recursion, 0
	.set _Z15sampleRateFloatIfEvPT_jjPS1_i.has_indirect_call, 0
	.section	.AMDGPU.csdata,"",@progbits
; Kernel info:
; codeLenInByte = 304
; TotalNumSgprs: 12
; NumVgprs: 6
; ScratchSize: 0
; MemoryBound: 0
; FloatMode: 240
; IeeeMode: 1
; LDSByteSize: 0 bytes/workgroup (compile time only)
; SGPRBlocks: 1
; VGPRBlocks: 1
; NumSGPRsForWavesPerEU: 12
; NumVGPRsForWavesPerEU: 6
; Occupancy: 10
; WaveLimiterHint : 0
; COMPUTE_PGM_RSRC2:SCRATCH_EN: 0
; COMPUTE_PGM_RSRC2:USER_SGPR: 6
; COMPUTE_PGM_RSRC2:TRAP_HANDLER: 0
; COMPUTE_PGM_RSRC2:TGID_X_EN: 1
; COMPUTE_PGM_RSRC2:TGID_Y_EN: 0
; COMPUTE_PGM_RSRC2:TGID_Z_EN: 0
; COMPUTE_PGM_RSRC2:TIDIG_COMP_CNT: 0
	.section	.text._Z10sampleRateI15HIP_vector_typeIfLj2EEEvPT_jjPS3_i,"axG",@progbits,_Z10sampleRateI15HIP_vector_typeIfLj2EEEvPT_jjPS3_i,comdat
	.protected	_Z10sampleRateI15HIP_vector_typeIfLj2EEEvPT_jjPS3_i ; -- Begin function _Z10sampleRateI15HIP_vector_typeIfLj2EEEvPT_jjPS3_i
	.globl	_Z10sampleRateI15HIP_vector_typeIfLj2EEEvPT_jjPS3_i
	.p2align	8
	.type	_Z10sampleRateI15HIP_vector_typeIfLj2EEEvPT_jjPS3_i,@function
_Z10sampleRateI15HIP_vector_typeIfLj2EEEvPT_jjPS3_i: ; @_Z10sampleRateI15HIP_vector_typeIfLj2EEEvPT_jjPS3_i
; %bb.0:
	s_load_dword s2, s[4:5], 0x2c
	s_load_dword s7, s[4:5], 0x18
	s_load_dwordx2 s[0:1], s[4:5], 0x8
	s_waitcnt lgkmcnt(0)
	s_and_b32 s2, s2, 0xffff
	s_mul_i32 s6, s6, s2
	s_cmp_lt_i32 s7, 1
	v_add_u32_e32 v0, s6, v0
	s_cbranch_scc1 .LBB1_3
; %bb.1:
	v_cvt_f32_u32_e32 v1, s0
	s_sub_i32 s2, 0, s0
	v_rcp_iflag_f32_e32 v1, v1
	v_mul_f32_e32 v1, 0x4f7ffffe, v1
	v_cvt_u32_f32_e32 v1, v1
	v_mul_lo_u32 v2, s2, v1
	s_load_dwordx2 s[2:3], s[4:5], 0x10
	v_mul_hi_u32 v2, v1, v2
	v_add_u32_e32 v1, v1, v2
	v_mul_hi_u32 v1, v0, v1
	v_mul_lo_u32 v1, v1, s0
	v_sub_u32_e32 v1, v0, v1
	v_subrev_u32_e32 v2, s0, v1
	v_cmp_le_u32_e32 vcc, s0, v1
	v_cndmask_b32_e32 v1, v1, v2, vcc
	v_subrev_u32_e32 v2, s0, v1
	v_cmp_le_u32_e32 vcc, s0, v1
	v_cndmask_b32_e32 v1, v1, v2, vcc
	v_mov_b32_e32 v2, 0
	v_lshlrev_b64 v[4:5], 3, v[1:2]
	v_mov_b32_e32 v3, v2
.LBB1_2:                                ; =>This Inner Loop Header: Depth=1
	s_waitcnt lgkmcnt(0)
	s_load_dwordx2 s[8:9], s[2:3], 0x0
	s_add_i32 s7, s7, -1
	s_add_u32 s2, s2, 8
	s_addc_u32 s3, s3, 0
	s_cmp_eq_u32 s7, 0
	s_waitcnt lgkmcnt(0)
	v_mov_b32_e32 v1, s9
	v_add_co_u32_e32 v6, vcc, s8, v4
	v_addc_co_u32_e32 v7, vcc, v1, v5, vcc
	flat_load_dwordx2 v[6:7], v[6:7]
	s_waitcnt vmcnt(0) lgkmcnt(0)
	v_add_f32_e32 v2, v6, v2
	v_add_f32_e32 v3, v7, v3
	s_cbranch_scc0 .LBB1_2
	s_branch .LBB1_4
.LBB1_3:
	v_mov_b32_e32 v3, 0
	v_mov_b32_e32 v2, 0
.LBB1_4:
	v_cvt_u32_f32_e32 v1, v2
	v_mul_lo_u32 v1, s1, v1
	v_cmp_ne_u32_e32 vcc, 0, v1
	s_and_saveexec_b64 s[0:1], vcc
	s_cbranch_execz .LBB1_6
; %bb.5:
	s_load_dwordx2 s[0:1], s[4:5], 0x0
	v_mov_b32_e32 v1, 0
	v_lshlrev_b64 v[0:1], 3, v[0:1]
	s_waitcnt lgkmcnt(0)
	v_mov_b32_e32 v4, s1
	v_add_co_u32_e32 v0, vcc, s0, v0
	v_addc_co_u32_e32 v1, vcc, v4, v1, vcc
	global_store_dwordx2 v[0:1], v[2:3], off
.LBB1_6:
	s_endpgm
	.section	.rodata,"a",@progbits
	.p2align	6, 0x0
	.amdhsa_kernel _Z10sampleRateI15HIP_vector_typeIfLj2EEEvPT_jjPS3_i
		.amdhsa_group_segment_fixed_size 0
		.amdhsa_private_segment_fixed_size 0
		.amdhsa_kernarg_size 288
		.amdhsa_user_sgpr_count 6
		.amdhsa_user_sgpr_private_segment_buffer 1
		.amdhsa_user_sgpr_dispatch_ptr 0
		.amdhsa_user_sgpr_queue_ptr 0
		.amdhsa_user_sgpr_kernarg_segment_ptr 1
		.amdhsa_user_sgpr_dispatch_id 0
		.amdhsa_user_sgpr_flat_scratch_init 0
		.amdhsa_user_sgpr_private_segment_size 0
		.amdhsa_uses_dynamic_stack 0
		.amdhsa_system_sgpr_private_segment_wavefront_offset 0
		.amdhsa_system_sgpr_workgroup_id_x 1
		.amdhsa_system_sgpr_workgroup_id_y 0
		.amdhsa_system_sgpr_workgroup_id_z 0
		.amdhsa_system_sgpr_workgroup_info 0
		.amdhsa_system_vgpr_workitem_id 0
		.amdhsa_next_free_vgpr 8
		.amdhsa_next_free_sgpr 10
		.amdhsa_reserve_vcc 1
		.amdhsa_reserve_flat_scratch 0
		.amdhsa_float_round_mode_32 0
		.amdhsa_float_round_mode_16_64 0
		.amdhsa_float_denorm_mode_32 3
		.amdhsa_float_denorm_mode_16_64 3
		.amdhsa_dx10_clamp 1
		.amdhsa_ieee_mode 1
		.amdhsa_fp16_overflow 0
		.amdhsa_exception_fp_ieee_invalid_op 0
		.amdhsa_exception_fp_denorm_src 0
		.amdhsa_exception_fp_ieee_div_zero 0
		.amdhsa_exception_fp_ieee_overflow 0
		.amdhsa_exception_fp_ieee_underflow 0
		.amdhsa_exception_fp_ieee_inexact 0
		.amdhsa_exception_int_div_zero 0
	.end_amdhsa_kernel
	.section	.text._Z10sampleRateI15HIP_vector_typeIfLj2EEEvPT_jjPS3_i,"axG",@progbits,_Z10sampleRateI15HIP_vector_typeIfLj2EEEvPT_jjPS3_i,comdat
.Lfunc_end1:
	.size	_Z10sampleRateI15HIP_vector_typeIfLj2EEEvPT_jjPS3_i, .Lfunc_end1-_Z10sampleRateI15HIP_vector_typeIfLj2EEEvPT_jjPS3_i
                                        ; -- End function
	.set _Z10sampleRateI15HIP_vector_typeIfLj2EEEvPT_jjPS3_i.num_vgpr, 8
	.set _Z10sampleRateI15HIP_vector_typeIfLj2EEEvPT_jjPS3_i.num_agpr, 0
	.set _Z10sampleRateI15HIP_vector_typeIfLj2EEEvPT_jjPS3_i.numbered_sgpr, 10
	.set _Z10sampleRateI15HIP_vector_typeIfLj2EEEvPT_jjPS3_i.num_named_barrier, 0
	.set _Z10sampleRateI15HIP_vector_typeIfLj2EEEvPT_jjPS3_i.private_seg_size, 0
	.set _Z10sampleRateI15HIP_vector_typeIfLj2EEEvPT_jjPS3_i.uses_vcc, 1
	.set _Z10sampleRateI15HIP_vector_typeIfLj2EEEvPT_jjPS3_i.uses_flat_scratch, 0
	.set _Z10sampleRateI15HIP_vector_typeIfLj2EEEvPT_jjPS3_i.has_dyn_sized_stack, 0
	.set _Z10sampleRateI15HIP_vector_typeIfLj2EEEvPT_jjPS3_i.has_recursion, 0
	.set _Z10sampleRateI15HIP_vector_typeIfLj2EEEvPT_jjPS3_i.has_indirect_call, 0
	.section	.AMDGPU.csdata,"",@progbits
; Kernel info:
; codeLenInByte = 316
; TotalNumSgprs: 14
; NumVgprs: 8
; ScratchSize: 0
; MemoryBound: 0
; FloatMode: 240
; IeeeMode: 1
; LDSByteSize: 0 bytes/workgroup (compile time only)
; SGPRBlocks: 1
; VGPRBlocks: 1
; NumSGPRsForWavesPerEU: 14
; NumVGPRsForWavesPerEU: 8
; Occupancy: 10
; WaveLimiterHint : 1
; COMPUTE_PGM_RSRC2:SCRATCH_EN: 0
; COMPUTE_PGM_RSRC2:USER_SGPR: 6
; COMPUTE_PGM_RSRC2:TRAP_HANDLER: 0
; COMPUTE_PGM_RSRC2:TGID_X_EN: 1
; COMPUTE_PGM_RSRC2:TGID_Y_EN: 0
; COMPUTE_PGM_RSRC2:TGID_Z_EN: 0
; COMPUTE_PGM_RSRC2:TIDIG_COMP_CNT: 0
	.section	.text._Z10sampleRateI15HIP_vector_typeIfLj4EEEvPT_jjPS3_i,"axG",@progbits,_Z10sampleRateI15HIP_vector_typeIfLj4EEEvPT_jjPS3_i,comdat
	.protected	_Z10sampleRateI15HIP_vector_typeIfLj4EEEvPT_jjPS3_i ; -- Begin function _Z10sampleRateI15HIP_vector_typeIfLj4EEEvPT_jjPS3_i
	.globl	_Z10sampleRateI15HIP_vector_typeIfLj4EEEvPT_jjPS3_i
	.p2align	8
	.type	_Z10sampleRateI15HIP_vector_typeIfLj4EEEvPT_jjPS3_i,@function
_Z10sampleRateI15HIP_vector_typeIfLj4EEEvPT_jjPS3_i: ; @_Z10sampleRateI15HIP_vector_typeIfLj4EEEvPT_jjPS3_i
; %bb.0:
	s_load_dword s2, s[4:5], 0x2c
	s_load_dword s7, s[4:5], 0x18
	s_load_dwordx2 s[0:1], s[4:5], 0x8
	s_waitcnt lgkmcnt(0)
	s_and_b32 s2, s2, 0xffff
	s_mul_i32 s6, s6, s2
	s_cmp_lt_i32 s7, 1
	v_add_u32_e32 v4, s6, v0
	s_cbranch_scc1 .LBB2_3
; %bb.1:
	v_cvt_f32_u32_e32 v0, s0
	s_sub_i32 s2, 0, s0
	v_mov_b32_e32 v6, 0
	v_mov_b32_e32 v3, v6
	v_rcp_iflag_f32_e32 v0, v0
	v_mul_f32_e32 v0, 0x4f7ffffe, v0
	v_cvt_u32_f32_e32 v0, v0
	v_mul_lo_u32 v1, s2, v0
	s_load_dwordx2 s[2:3], s[4:5], 0x10
	v_mul_hi_u32 v1, v0, v1
	v_add_u32_e32 v0, v0, v1
	v_mul_hi_u32 v0, v4, v0
	v_mov_b32_e32 v1, v6
	v_mul_lo_u32 v0, v0, s0
	v_sub_u32_e32 v0, v4, v0
	v_subrev_u32_e32 v2, s0, v0
	v_cmp_le_u32_e32 vcc, s0, v0
	v_cndmask_b32_e32 v0, v0, v2, vcc
	v_subrev_u32_e32 v2, s0, v0
	v_cmp_le_u32_e32 vcc, s0, v0
	v_cndmask_b32_e32 v5, v0, v2, vcc
	v_lshlrev_b64 v[7:8], 4, v[5:6]
	v_mov_b32_e32 v2, v6
.LBB2_2:                                ; =>This Inner Loop Header: Depth=1
	s_waitcnt lgkmcnt(0)
	s_load_dwordx2 s[8:9], s[2:3], 0x0
	s_add_i32 s7, s7, -1
	s_add_u32 s2, s2, 8
	s_addc_u32 s3, s3, 0
	s_cmp_eq_u32 s7, 0
	s_waitcnt lgkmcnt(0)
	v_mov_b32_e32 v0, s9
	v_add_co_u32_e32 v9, vcc, s8, v7
	v_addc_co_u32_e32 v10, vcc, v0, v8, vcc
	flat_load_dwordx4 v[9:12], v[9:10]
	s_waitcnt vmcnt(0) lgkmcnt(0)
	v_add_f32_e32 v6, v9, v6
	v_add_f32_e32 v1, v10, v1
	;; [unrolled: 1-line block ×4, first 2 shown]
	s_cbranch_scc0 .LBB2_2
	s_branch .LBB2_4
.LBB2_3:
	v_mov_b32_e32 v3, 0
	v_mov_b32_e32 v2, 0
	;; [unrolled: 1-line block ×4, first 2 shown]
.LBB2_4:
	v_cvt_u32_f32_e32 v0, v6
	v_mul_lo_u32 v0, s1, v0
	v_cmp_ne_u32_e32 vcc, 0, v0
	s_and_saveexec_b64 s[0:1], vcc
	s_cbranch_execz .LBB2_6
; %bb.5:
	s_load_dwordx2 s[0:1], s[4:5], 0x0
	v_mov_b32_e32 v5, 0
	v_lshlrev_b64 v[4:5], 4, v[4:5]
	s_waitcnt lgkmcnt(0)
	v_mov_b32_e32 v0, s1
	v_add_co_u32_e32 v4, vcc, s0, v4
	v_addc_co_u32_e32 v5, vcc, v0, v5, vcc
	v_mov_b32_e32 v0, v6
	global_store_dwordx4 v[4:5], v[0:3], off
.LBB2_6:
	s_endpgm
	.section	.rodata,"a",@progbits
	.p2align	6, 0x0
	.amdhsa_kernel _Z10sampleRateI15HIP_vector_typeIfLj4EEEvPT_jjPS3_i
		.amdhsa_group_segment_fixed_size 0
		.amdhsa_private_segment_fixed_size 0
		.amdhsa_kernarg_size 288
		.amdhsa_user_sgpr_count 6
		.amdhsa_user_sgpr_private_segment_buffer 1
		.amdhsa_user_sgpr_dispatch_ptr 0
		.amdhsa_user_sgpr_queue_ptr 0
		.amdhsa_user_sgpr_kernarg_segment_ptr 1
		.amdhsa_user_sgpr_dispatch_id 0
		.amdhsa_user_sgpr_flat_scratch_init 0
		.amdhsa_user_sgpr_private_segment_size 0
		.amdhsa_uses_dynamic_stack 0
		.amdhsa_system_sgpr_private_segment_wavefront_offset 0
		.amdhsa_system_sgpr_workgroup_id_x 1
		.amdhsa_system_sgpr_workgroup_id_y 0
		.amdhsa_system_sgpr_workgroup_id_z 0
		.amdhsa_system_sgpr_workgroup_info 0
		.amdhsa_system_vgpr_workitem_id 0
		.amdhsa_next_free_vgpr 13
		.amdhsa_next_free_sgpr 10
		.amdhsa_reserve_vcc 1
		.amdhsa_reserve_flat_scratch 0
		.amdhsa_float_round_mode_32 0
		.amdhsa_float_round_mode_16_64 0
		.amdhsa_float_denorm_mode_32 3
		.amdhsa_float_denorm_mode_16_64 3
		.amdhsa_dx10_clamp 1
		.amdhsa_ieee_mode 1
		.amdhsa_fp16_overflow 0
		.amdhsa_exception_fp_ieee_invalid_op 0
		.amdhsa_exception_fp_denorm_src 0
		.amdhsa_exception_fp_ieee_div_zero 0
		.amdhsa_exception_fp_ieee_overflow 0
		.amdhsa_exception_fp_ieee_underflow 0
		.amdhsa_exception_fp_ieee_inexact 0
		.amdhsa_exception_int_div_zero 0
	.end_amdhsa_kernel
	.section	.text._Z10sampleRateI15HIP_vector_typeIfLj4EEEvPT_jjPS3_i,"axG",@progbits,_Z10sampleRateI15HIP_vector_typeIfLj4EEEvPT_jjPS3_i,comdat
.Lfunc_end2:
	.size	_Z10sampleRateI15HIP_vector_typeIfLj4EEEvPT_jjPS3_i, .Lfunc_end2-_Z10sampleRateI15HIP_vector_typeIfLj4EEEvPT_jjPS3_i
                                        ; -- End function
	.set _Z10sampleRateI15HIP_vector_typeIfLj4EEEvPT_jjPS3_i.num_vgpr, 13
	.set _Z10sampleRateI15HIP_vector_typeIfLj4EEEvPT_jjPS3_i.num_agpr, 0
	.set _Z10sampleRateI15HIP_vector_typeIfLj4EEEvPT_jjPS3_i.numbered_sgpr, 10
	.set _Z10sampleRateI15HIP_vector_typeIfLj4EEEvPT_jjPS3_i.num_named_barrier, 0
	.set _Z10sampleRateI15HIP_vector_typeIfLj4EEEvPT_jjPS3_i.private_seg_size, 0
	.set _Z10sampleRateI15HIP_vector_typeIfLj4EEEvPT_jjPS3_i.uses_vcc, 1
	.set _Z10sampleRateI15HIP_vector_typeIfLj4EEEvPT_jjPS3_i.uses_flat_scratch, 0
	.set _Z10sampleRateI15HIP_vector_typeIfLj4EEEvPT_jjPS3_i.has_dyn_sized_stack, 0
	.set _Z10sampleRateI15HIP_vector_typeIfLj4EEEvPT_jjPS3_i.has_recursion, 0
	.set _Z10sampleRateI15HIP_vector_typeIfLj4EEEvPT_jjPS3_i.has_indirect_call, 0
	.section	.AMDGPU.csdata,"",@progbits
; Kernel info:
; codeLenInByte = 344
; TotalNumSgprs: 14
; NumVgprs: 13
; ScratchSize: 0
; MemoryBound: 0
; FloatMode: 240
; IeeeMode: 1
; LDSByteSize: 0 bytes/workgroup (compile time only)
; SGPRBlocks: 1
; VGPRBlocks: 3
; NumSGPRsForWavesPerEU: 14
; NumVGPRsForWavesPerEU: 13
; Occupancy: 10
; WaveLimiterHint : 1
; COMPUTE_PGM_RSRC2:SCRATCH_EN: 0
; COMPUTE_PGM_RSRC2:USER_SGPR: 6
; COMPUTE_PGM_RSRC2:TRAP_HANDLER: 0
; COMPUTE_PGM_RSRC2:TGID_X_EN: 1
; COMPUTE_PGM_RSRC2:TGID_Y_EN: 0
; COMPUTE_PGM_RSRC2:TGID_Z_EN: 0
; COMPUTE_PGM_RSRC2:TIDIG_COMP_CNT: 0
	.section	.AMDGPU.gpr_maximums,"",@progbits
	.set amdgpu.max_num_vgpr, 0
	.set amdgpu.max_num_agpr, 0
	.set amdgpu.max_num_sgpr, 0
	.section	.AMDGPU.csdata,"",@progbits
	.type	__hip_cuid_c377fe184d622026,@object ; @__hip_cuid_c377fe184d622026
	.section	.bss,"aw",@nobits
	.globl	__hip_cuid_c377fe184d622026
__hip_cuid_c377fe184d622026:
	.byte	0                               ; 0x0
	.size	__hip_cuid_c377fe184d622026, 1

	.ident	"AMD clang version 22.0.0git (https://github.com/RadeonOpenCompute/llvm-project roc-7.2.4 26084 f58b06dce1f9c15707c5f808fd002e18c2accf7e)"
	.section	".note.GNU-stack","",@progbits
	.addrsig
	.addrsig_sym __hip_cuid_c377fe184d622026
	.amdgpu_metadata
---
amdhsa.kernels:
  - .args:
      - .address_space:  global
        .offset:         0
        .size:           8
        .value_kind:     global_buffer
      - .offset:         8
        .size:           4
        .value_kind:     by_value
      - .offset:         12
        .size:           4
        .value_kind:     by_value
      - .address_space:  global
        .offset:         16
        .size:           8
        .value_kind:     global_buffer
      - .offset:         24
        .size:           4
        .value_kind:     by_value
      - .offset:         32
        .size:           4
        .value_kind:     hidden_block_count_x
      - .offset:         36
        .size:           4
        .value_kind:     hidden_block_count_y
      - .offset:         40
        .size:           4
        .value_kind:     hidden_block_count_z
      - .offset:         44
        .size:           2
        .value_kind:     hidden_group_size_x
      - .offset:         46
        .size:           2
        .value_kind:     hidden_group_size_y
      - .offset:         48
        .size:           2
        .value_kind:     hidden_group_size_z
      - .offset:         50
        .size:           2
        .value_kind:     hidden_remainder_x
      - .offset:         52
        .size:           2
        .value_kind:     hidden_remainder_y
      - .offset:         54
        .size:           2
        .value_kind:     hidden_remainder_z
      - .offset:         72
        .size:           8
        .value_kind:     hidden_global_offset_x
      - .offset:         80
        .size:           8
        .value_kind:     hidden_global_offset_y
      - .offset:         88
        .size:           8
        .value_kind:     hidden_global_offset_z
      - .offset:         96
        .size:           2
        .value_kind:     hidden_grid_dims
    .group_segment_fixed_size: 0
    .kernarg_segment_align: 8
    .kernarg_segment_size: 288
    .language:       OpenCL C
    .language_version:
      - 2
      - 0
    .max_flat_workgroup_size: 1024
    .name:           _Z15sampleRateFloatIfEvPT_jjPS1_i
    .private_segment_fixed_size: 0
    .sgpr_count:     12
    .sgpr_spill_count: 0
    .symbol:         _Z15sampleRateFloatIfEvPT_jjPS1_i.kd
    .uniform_work_group_size: 1
    .uses_dynamic_stack: false
    .vgpr_count:     6
    .vgpr_spill_count: 0
    .wavefront_size: 64
  - .args:
      - .address_space:  global
        .offset:         0
        .size:           8
        .value_kind:     global_buffer
      - .offset:         8
        .size:           4
        .value_kind:     by_value
      - .offset:         12
        .size:           4
        .value_kind:     by_value
      - .address_space:  global
        .offset:         16
        .size:           8
        .value_kind:     global_buffer
      - .offset:         24
        .size:           4
        .value_kind:     by_value
      - .offset:         32
        .size:           4
        .value_kind:     hidden_block_count_x
      - .offset:         36
        .size:           4
        .value_kind:     hidden_block_count_y
      - .offset:         40
        .size:           4
        .value_kind:     hidden_block_count_z
      - .offset:         44
        .size:           2
        .value_kind:     hidden_group_size_x
      - .offset:         46
        .size:           2
        .value_kind:     hidden_group_size_y
      - .offset:         48
        .size:           2
        .value_kind:     hidden_group_size_z
      - .offset:         50
        .size:           2
        .value_kind:     hidden_remainder_x
      - .offset:         52
        .size:           2
        .value_kind:     hidden_remainder_y
      - .offset:         54
        .size:           2
        .value_kind:     hidden_remainder_z
      - .offset:         72
        .size:           8
        .value_kind:     hidden_global_offset_x
      - .offset:         80
        .size:           8
        .value_kind:     hidden_global_offset_y
      - .offset:         88
        .size:           8
        .value_kind:     hidden_global_offset_z
      - .offset:         96
        .size:           2
        .value_kind:     hidden_grid_dims
    .group_segment_fixed_size: 0
    .kernarg_segment_align: 8
    .kernarg_segment_size: 288
    .language:       OpenCL C
    .language_version:
      - 2
      - 0
    .max_flat_workgroup_size: 1024
    .name:           _Z10sampleRateI15HIP_vector_typeIfLj2EEEvPT_jjPS3_i
    .private_segment_fixed_size: 0
    .sgpr_count:     14
    .sgpr_spill_count: 0
    .symbol:         _Z10sampleRateI15HIP_vector_typeIfLj2EEEvPT_jjPS3_i.kd
    .uniform_work_group_size: 1
    .uses_dynamic_stack: false
    .vgpr_count:     8
    .vgpr_spill_count: 0
    .wavefront_size: 64
  - .args:
      - .address_space:  global
        .offset:         0
        .size:           8
        .value_kind:     global_buffer
      - .offset:         8
        .size:           4
        .value_kind:     by_value
      - .offset:         12
        .size:           4
        .value_kind:     by_value
      - .address_space:  global
        .offset:         16
        .size:           8
        .value_kind:     global_buffer
      - .offset:         24
        .size:           4
        .value_kind:     by_value
      - .offset:         32
        .size:           4
        .value_kind:     hidden_block_count_x
      - .offset:         36
        .size:           4
        .value_kind:     hidden_block_count_y
      - .offset:         40
        .size:           4
        .value_kind:     hidden_block_count_z
      - .offset:         44
        .size:           2
        .value_kind:     hidden_group_size_x
      - .offset:         46
        .size:           2
        .value_kind:     hidden_group_size_y
      - .offset:         48
        .size:           2
        .value_kind:     hidden_group_size_z
      - .offset:         50
        .size:           2
        .value_kind:     hidden_remainder_x
      - .offset:         52
        .size:           2
        .value_kind:     hidden_remainder_y
      - .offset:         54
        .size:           2
        .value_kind:     hidden_remainder_z
      - .offset:         72
        .size:           8
        .value_kind:     hidden_global_offset_x
      - .offset:         80
        .size:           8
        .value_kind:     hidden_global_offset_y
      - .offset:         88
        .size:           8
        .value_kind:     hidden_global_offset_z
      - .offset:         96
        .size:           2
        .value_kind:     hidden_grid_dims
    .group_segment_fixed_size: 0
    .kernarg_segment_align: 8
    .kernarg_segment_size: 288
    .language:       OpenCL C
    .language_version:
      - 2
      - 0
    .max_flat_workgroup_size: 1024
    .name:           _Z10sampleRateI15HIP_vector_typeIfLj4EEEvPT_jjPS3_i
    .private_segment_fixed_size: 0
    .sgpr_count:     14
    .sgpr_spill_count: 0
    .symbol:         _Z10sampleRateI15HIP_vector_typeIfLj4EEEvPT_jjPS3_i.kd
    .uniform_work_group_size: 1
    .uses_dynamic_stack: false
    .vgpr_count:     13
    .vgpr_spill_count: 0
    .wavefront_size: 64
amdhsa.target:   amdgcn-amd-amdhsa--gfx906
amdhsa.version:
  - 1
  - 2
...

	.end_amdgpu_metadata
